;; amdgpu-corpus repo=ROCm/rocFFT kind=compiled arch=gfx1030 opt=O3
	.text
	.amdgcn_target "amdgcn-amd-amdhsa--gfx1030"
	.amdhsa_code_object_version 6
	.protected	fft_rtc_fwd_len882_factors_9_7_7_2_wgs_63_tpt_63_sp_ip_CI_unitstride_sbrr_R2C_dirReg ; -- Begin function fft_rtc_fwd_len882_factors_9_7_7_2_wgs_63_tpt_63_sp_ip_CI_unitstride_sbrr_R2C_dirReg
	.globl	fft_rtc_fwd_len882_factors_9_7_7_2_wgs_63_tpt_63_sp_ip_CI_unitstride_sbrr_R2C_dirReg
	.p2align	8
	.type	fft_rtc_fwd_len882_factors_9_7_7_2_wgs_63_tpt_63_sp_ip_CI_unitstride_sbrr_R2C_dirReg,@function
fft_rtc_fwd_len882_factors_9_7_7_2_wgs_63_tpt_63_sp_ip_CI_unitstride_sbrr_R2C_dirReg: ; @fft_rtc_fwd_len882_factors_9_7_7_2_wgs_63_tpt_63_sp_ip_CI_unitstride_sbrr_R2C_dirReg
; %bb.0:
	s_clause 0x2
	s_load_dwordx4 s[8:11], s[4:5], 0x0
	s_load_dwordx2 s[2:3], s[4:5], 0x50
	s_load_dwordx2 s[12:13], s[4:5], 0x18
	v_mul_u32_u24_e32 v1, 0x411, v0
	v_mov_b32_e32 v3, 0
	v_add_nc_u32_sdwa v5, s6, v1 dst_sel:DWORD dst_unused:UNUSED_PAD src0_sel:DWORD src1_sel:WORD_1
	v_mov_b32_e32 v1, 0
	v_mov_b32_e32 v6, v3
	v_mov_b32_e32 v2, 0
	s_waitcnt lgkmcnt(0)
	v_cmp_lt_u64_e64 s0, s[10:11], 2
	s_and_b32 vcc_lo, exec_lo, s0
	s_cbranch_vccnz .LBB0_8
; %bb.1:
	s_load_dwordx2 s[0:1], s[4:5], 0x10
	v_mov_b32_e32 v1, 0
	s_add_u32 s6, s12, 8
	v_mov_b32_e32 v2, 0
	s_addc_u32 s7, s13, 0
	s_mov_b64 s[16:17], 1
	s_waitcnt lgkmcnt(0)
	s_add_u32 s14, s0, 8
	s_addc_u32 s15, s1, 0
.LBB0_2:                                ; =>This Inner Loop Header: Depth=1
	s_load_dwordx2 s[18:19], s[14:15], 0x0
                                        ; implicit-def: $vgpr7_vgpr8
	s_mov_b32 s0, exec_lo
	s_waitcnt lgkmcnt(0)
	v_or_b32_e32 v4, s19, v6
	v_cmpx_ne_u64_e32 0, v[3:4]
	s_xor_b32 s1, exec_lo, s0
	s_cbranch_execz .LBB0_4
; %bb.3:                                ;   in Loop: Header=BB0_2 Depth=1
	v_cvt_f32_u32_e32 v4, s18
	v_cvt_f32_u32_e32 v7, s19
	s_sub_u32 s0, 0, s18
	s_subb_u32 s20, 0, s19
	v_fmac_f32_e32 v4, 0x4f800000, v7
	v_rcp_f32_e32 v4, v4
	v_mul_f32_e32 v4, 0x5f7ffffc, v4
	v_mul_f32_e32 v7, 0x2f800000, v4
	v_trunc_f32_e32 v7, v7
	v_fmac_f32_e32 v4, 0xcf800000, v7
	v_cvt_u32_f32_e32 v7, v7
	v_cvt_u32_f32_e32 v4, v4
	v_mul_lo_u32 v8, s0, v7
	v_mul_hi_u32 v9, s0, v4
	v_mul_lo_u32 v10, s20, v4
	v_add_nc_u32_e32 v8, v9, v8
	v_mul_lo_u32 v9, s0, v4
	v_add_nc_u32_e32 v8, v8, v10
	v_mul_hi_u32 v10, v4, v9
	v_mul_lo_u32 v11, v4, v8
	v_mul_hi_u32 v12, v4, v8
	v_mul_hi_u32 v13, v7, v9
	v_mul_lo_u32 v9, v7, v9
	v_mul_hi_u32 v14, v7, v8
	v_mul_lo_u32 v8, v7, v8
	v_add_co_u32 v10, vcc_lo, v10, v11
	v_add_co_ci_u32_e32 v11, vcc_lo, 0, v12, vcc_lo
	v_add_co_u32 v9, vcc_lo, v10, v9
	v_add_co_ci_u32_e32 v9, vcc_lo, v11, v13, vcc_lo
	v_add_co_ci_u32_e32 v10, vcc_lo, 0, v14, vcc_lo
	v_add_co_u32 v8, vcc_lo, v9, v8
	v_add_co_ci_u32_e32 v9, vcc_lo, 0, v10, vcc_lo
	v_add_co_u32 v4, vcc_lo, v4, v8
	v_add_co_ci_u32_e32 v7, vcc_lo, v7, v9, vcc_lo
	v_mul_hi_u32 v8, s0, v4
	v_mul_lo_u32 v10, s20, v4
	v_mul_lo_u32 v9, s0, v7
	v_add_nc_u32_e32 v8, v8, v9
	v_mul_lo_u32 v9, s0, v4
	v_add_nc_u32_e32 v8, v8, v10
	v_mul_hi_u32 v10, v4, v9
	v_mul_lo_u32 v11, v4, v8
	v_mul_hi_u32 v12, v4, v8
	v_mul_hi_u32 v13, v7, v9
	v_mul_lo_u32 v9, v7, v9
	v_mul_hi_u32 v14, v7, v8
	v_mul_lo_u32 v8, v7, v8
	v_add_co_u32 v10, vcc_lo, v10, v11
	v_add_co_ci_u32_e32 v11, vcc_lo, 0, v12, vcc_lo
	v_add_co_u32 v9, vcc_lo, v10, v9
	v_add_co_ci_u32_e32 v9, vcc_lo, v11, v13, vcc_lo
	v_add_co_ci_u32_e32 v10, vcc_lo, 0, v14, vcc_lo
	v_add_co_u32 v8, vcc_lo, v9, v8
	v_add_co_ci_u32_e32 v9, vcc_lo, 0, v10, vcc_lo
	v_add_co_u32 v4, vcc_lo, v4, v8
	v_add_co_ci_u32_e32 v11, vcc_lo, v7, v9, vcc_lo
	v_mul_hi_u32 v13, v5, v4
	v_mad_u64_u32 v[9:10], null, v6, v4, 0
	v_mad_u64_u32 v[7:8], null, v5, v11, 0
	;; [unrolled: 1-line block ×3, first 2 shown]
	v_add_co_u32 v4, vcc_lo, v13, v7
	v_add_co_ci_u32_e32 v7, vcc_lo, 0, v8, vcc_lo
	v_add_co_u32 v4, vcc_lo, v4, v9
	v_add_co_ci_u32_e32 v4, vcc_lo, v7, v10, vcc_lo
	v_add_co_ci_u32_e32 v7, vcc_lo, 0, v12, vcc_lo
	v_add_co_u32 v4, vcc_lo, v4, v11
	v_add_co_ci_u32_e32 v9, vcc_lo, 0, v7, vcc_lo
	v_mul_lo_u32 v10, s19, v4
	v_mad_u64_u32 v[7:8], null, s18, v4, 0
	v_mul_lo_u32 v11, s18, v9
	v_sub_co_u32 v7, vcc_lo, v5, v7
	v_add3_u32 v8, v8, v11, v10
	v_sub_nc_u32_e32 v10, v6, v8
	v_subrev_co_ci_u32_e64 v10, s0, s19, v10, vcc_lo
	v_add_co_u32 v11, s0, v4, 2
	v_add_co_ci_u32_e64 v12, s0, 0, v9, s0
	v_sub_co_u32 v13, s0, v7, s18
	v_sub_co_ci_u32_e32 v8, vcc_lo, v6, v8, vcc_lo
	v_subrev_co_ci_u32_e64 v10, s0, 0, v10, s0
	v_cmp_le_u32_e32 vcc_lo, s18, v13
	v_cmp_eq_u32_e64 s0, s19, v8
	v_cndmask_b32_e64 v13, 0, -1, vcc_lo
	v_cmp_le_u32_e32 vcc_lo, s19, v10
	v_cndmask_b32_e64 v14, 0, -1, vcc_lo
	v_cmp_le_u32_e32 vcc_lo, s18, v7
	;; [unrolled: 2-line block ×3, first 2 shown]
	v_cndmask_b32_e64 v15, 0, -1, vcc_lo
	v_cmp_eq_u32_e32 vcc_lo, s19, v10
	v_cndmask_b32_e64 v7, v15, v7, s0
	v_cndmask_b32_e32 v10, v14, v13, vcc_lo
	v_add_co_u32 v13, vcc_lo, v4, 1
	v_add_co_ci_u32_e32 v14, vcc_lo, 0, v9, vcc_lo
	v_cmp_ne_u32_e32 vcc_lo, 0, v10
	v_cndmask_b32_e32 v8, v14, v12, vcc_lo
	v_cndmask_b32_e32 v10, v13, v11, vcc_lo
	v_cmp_ne_u32_e32 vcc_lo, 0, v7
	v_cndmask_b32_e32 v8, v9, v8, vcc_lo
	v_cndmask_b32_e32 v7, v4, v10, vcc_lo
.LBB0_4:                                ;   in Loop: Header=BB0_2 Depth=1
	s_andn2_saveexec_b32 s0, s1
	s_cbranch_execz .LBB0_6
; %bb.5:                                ;   in Loop: Header=BB0_2 Depth=1
	v_cvt_f32_u32_e32 v4, s18
	s_sub_i32 s1, 0, s18
	v_rcp_iflag_f32_e32 v4, v4
	v_mul_f32_e32 v4, 0x4f7ffffe, v4
	v_cvt_u32_f32_e32 v4, v4
	v_mul_lo_u32 v7, s1, v4
	v_mul_hi_u32 v7, v4, v7
	v_add_nc_u32_e32 v4, v4, v7
	v_mul_hi_u32 v4, v5, v4
	v_mul_lo_u32 v7, v4, s18
	v_add_nc_u32_e32 v8, 1, v4
	v_sub_nc_u32_e32 v7, v5, v7
	v_subrev_nc_u32_e32 v9, s18, v7
	v_cmp_le_u32_e32 vcc_lo, s18, v7
	v_cndmask_b32_e32 v7, v7, v9, vcc_lo
	v_cndmask_b32_e32 v4, v4, v8, vcc_lo
	v_cmp_le_u32_e32 vcc_lo, s18, v7
	v_add_nc_u32_e32 v8, 1, v4
	v_cndmask_b32_e32 v7, v4, v8, vcc_lo
	v_mov_b32_e32 v8, v3
.LBB0_6:                                ;   in Loop: Header=BB0_2 Depth=1
	s_or_b32 exec_lo, exec_lo, s0
	s_load_dwordx2 s[0:1], s[6:7], 0x0
	v_mul_lo_u32 v4, v8, s18
	v_mul_lo_u32 v11, v7, s19
	v_mad_u64_u32 v[9:10], null, v7, s18, 0
	s_add_u32 s16, s16, 1
	s_addc_u32 s17, s17, 0
	s_add_u32 s6, s6, 8
	s_addc_u32 s7, s7, 0
	;; [unrolled: 2-line block ×3, first 2 shown]
	v_add3_u32 v4, v10, v11, v4
	v_sub_co_u32 v5, vcc_lo, v5, v9
	v_sub_co_ci_u32_e32 v4, vcc_lo, v6, v4, vcc_lo
	s_waitcnt lgkmcnt(0)
	v_mul_lo_u32 v6, s1, v5
	v_mul_lo_u32 v4, s0, v4
	v_mad_u64_u32 v[1:2], null, s0, v5, v[1:2]
	v_cmp_ge_u64_e64 s0, s[16:17], s[10:11]
	s_and_b32 vcc_lo, exec_lo, s0
	v_add3_u32 v2, v6, v2, v4
	s_cbranch_vccnz .LBB0_9
; %bb.7:                                ;   in Loop: Header=BB0_2 Depth=1
	v_mov_b32_e32 v5, v7
	v_mov_b32_e32 v6, v8
	s_branch .LBB0_2
.LBB0_8:
	v_mov_b32_e32 v8, v6
	v_mov_b32_e32 v7, v5
.LBB0_9:
	s_lshl_b64 s[0:1], s[10:11], 3
	v_mul_hi_u32 v3, 0x4104105, v0
	s_add_u32 s0, s12, s0
	s_addc_u32 s1, s13, s1
	s_load_dwordx2 s[0:1], s[0:1], 0x0
	s_load_dwordx2 s[4:5], s[4:5], 0x20
	v_mul_u32_u24_e32 v3, 63, v3
	v_sub_nc_u32_e32 v36, v0, v3
	v_add_nc_u32_e32 v40, 63, v36
	s_waitcnt lgkmcnt(0)
	v_mul_lo_u32 v4, s0, v8
	v_mul_lo_u32 v5, s1, v7
	v_mad_u64_u32 v[1:2], null, s0, v7, v[1:2]
	v_cmp_gt_u64_e32 vcc_lo, s[4:5], v[7:8]
	v_cmp_le_u64_e64 s0, s[4:5], v[7:8]
	v_add3_u32 v2, v5, v2, v4
	s_and_saveexec_b32 s1, s0
	s_xor_b32 s0, exec_lo, s1
; %bb.10:
	v_add_nc_u32_e32 v40, 63, v36
; %bb.11:
	s_or_saveexec_b32 s1, s0
	v_lshlrev_b64 v[38:39], 3, v[1:2]
	v_lshl_add_u32 v42, v36, 3, 0
	s_xor_b32 exec_lo, exec_lo, s1
	s_cbranch_execz .LBB0_13
; %bb.12:
	v_mov_b32_e32 v37, 0
	v_add_co_u32 v2, s0, s2, v38
	v_add_co_ci_u32_e64 v3, s0, s3, v39, s0
	v_lshlrev_b64 v[0:1], 3, v[36:37]
	v_add_nc_u32_e32 v28, 0x400, v42
	v_add_nc_u32_e32 v29, 0x800, v42
	;; [unrolled: 1-line block ×5, first 2 shown]
	v_add_co_u32 v0, s0, v2, v0
	v_add_co_ci_u32_e64 v1, s0, v3, v1, s0
	v_add_co_u32 v2, s0, 0x800, v0
	v_add_co_ci_u32_e64 v3, s0, 0, v1, s0
	;; [unrolled: 2-line block ×3, first 2 shown]
	s_clause 0x7
	global_load_dwordx2 v[4:5], v[0:1], off
	global_load_dwordx2 v[6:7], v[0:1], off offset:504
	global_load_dwordx2 v[8:9], v[0:1], off offset:1008
	;; [unrolled: 1-line block ×7, first 2 shown]
	v_add_co_u32 v0, s0, 0x1800, v0
	v_add_co_ci_u32_e64 v1, s0, 0, v1, s0
	s_clause 0x5
	global_load_dwordx2 v[2:3], v[2:3], off offset:1984
	global_load_dwordx2 v[22:23], v[20:21], off offset:440
	;; [unrolled: 1-line block ×6, first 2 shown]
	s_waitcnt vmcnt(12)
	ds_write2_b64 v42, v[4:5], v[6:7] offset1:63
	s_waitcnt vmcnt(10)
	ds_write2_b64 v42, v[8:9], v[10:11] offset0:126 offset1:189
	s_waitcnt vmcnt(8)
	ds_write2_b64 v28, v[12:13], v[14:15] offset0:124 offset1:187
	;; [unrolled: 2-line block ×6, first 2 shown]
.LBB0_13:
	s_or_b32 exec_lo, exec_lo, s1
	v_add_nc_u32_e32 v0, 0x1800, v42
	v_add_nc_u32_e32 v46, 0x400, v42
	;; [unrolled: 1-line block ×4, first 2 shown]
	s_waitcnt lgkmcnt(0)
	s_barrier
	buffer_gl0_inv
	ds_read2_b64 v[12:15], v42 offset0:98 offset1:161
	ds_read2_b64 v[20:23], v0 offset0:16 offset1:79
	;; [unrolled: 1-line block ×6, first 2 shown]
	v_add_nc_u32_e32 v44, 0xc00, v42
	ds_read2_b64 v[0:3], v42 offset1:63
	ds_read2_b64 v[8:11], v43 offset0:136 offset1:199
	ds_read2_b64 v[4:7], v44 offset0:106 offset1:169
	s_waitcnt lgkmcnt(0)
	s_barrier
	buffer_gl0_inv
	s_mov_b32 s1, exec_lo
	v_add_f32_e32 v37, v12, v20
	v_add_f32_e32 v41, v13, v21
	;; [unrolled: 1-line block ×5, first 2 shown]
	v_sub_f32_e32 v20, v12, v20
	v_sub_f32_e32 v21, v13, v21
	v_add_f32_e32 v53, v47, v37
	v_add_f32_e32 v50, v17, v25
	v_sub_f32_e32 v28, v28, v32
	v_sub_f32_e32 v29, v29, v33
	;; [unrolled: 1-line block ×3, first 2 shown]
	v_add_f32_e32 v54, v49, v53
	v_mul_f32_e32 v24, 0x3f248dbb, v20
	v_sub_f32_e32 v17, v17, v25
	v_mul_f32_e32 v25, 0x3f248dbb, v21
	v_fmamk_f32 v12, v37, 0x3f441b7d, v0
	v_fmamk_f32 v13, v41, 0x3f441b7d, v1
	v_sub_f32_e32 v32, v8, v4
	v_add_f32_e32 v51, v8, v4
	v_add_f32_e32 v8, v8, v54
	;; [unrolled: 1-line block ×3, first 2 shown]
	v_fmac_f32_e32 v24, 0x3f7c1c5c, v28
	v_fmac_f32_e32 v25, 0x3f7c1c5c, v29
	;; [unrolled: 1-line block ×4, first 2 shown]
	v_add_f32_e32 v55, v50, v54
	v_fmac_f32_e32 v24, 0x3f5db3d7, v16
	v_fmac_f32_e32 v25, 0x3f5db3d7, v17
	v_fmac_f32_e32 v12, -0.5, v49
	v_fmac_f32_e32 v13, -0.5, v50
	v_sub_f32_e32 v33, v9, v5
	v_add_f32_e32 v52, v9, v5
	v_add_f32_e32 v9, v9, v55
	v_fmac_f32_e32 v24, 0x3eaf1d44, v32
	v_fmac_f32_e32 v12, 0xbf708fb2, v51
	;; [unrolled: 1-line block ×4, first 2 shown]
	v_add_f32_e32 v4, v4, v8
	v_add_f32_e32 v5, v5, v9
	v_lshlrev_b32_e32 v9, 6, v36
	v_add_f32_e32 v12, v25, v12
	v_sub_f32_e32 v13, v13, v24
	v_add_f32_e32 v4, v4, v0
	v_add_f32_e32 v5, v5, v1
	v_add_nc_u32_e32 v8, v42, v9
	v_mul_f32_e32 v55, 0x3f7c1c5c, v32
	ds_write2_b64 v8, v[4:5], v[12:13] offset1:1
	v_fma_f32 v4, -2.0, v25, v12
	v_fma_f32 v5, 2.0, v24, v13
	v_mul_f32_e32 v24, 0xbf248dbb, v32
	v_fmamk_f32 v12, v51, 0x3f441b7d, v0
	v_fma_f32 v55, 0xbf248dbb, v28, -v55
	v_add_f32_e32 v32, v32, v20
	v_fmamk_f32 v13, v52, 0x3f441b7d, v1
	v_fmac_f32_e32 v24, 0x3f7c1c5c, v20
	v_fmac_f32_e32 v12, 0x3e31d0d4, v37
	;; [unrolled: 1-line block ×3, first 2 shown]
	v_mul_f32_e32 v25, 0xbf248dbb, v33
	v_fmac_f32_e32 v13, 0x3e31d0d4, v41
	v_fmac_f32_e32 v24, 0xbf5db3d7, v16
	v_fmac_f32_e32 v12, -0.5, v49
	v_mul_f32_e32 v16, 0x3f7c1c5c, v33
	v_fmac_f32_e32 v25, 0x3f7c1c5c, v21
	v_fmac_f32_e32 v13, -0.5, v50
	v_fmac_f32_e32 v24, 0x3eaf1d44, v28
	v_fmac_f32_e32 v12, 0xbf708fb2, v47
	v_sub_f32_e32 v28, v32, v28
	v_fma_f32 v32, 0xbf248dbb, v29, -v16
	v_fmamk_f32 v16, v47, 0x3f441b7d, v0
	v_fmamk_f32 v47, v48, 0x3f441b7d, v1
	v_fmac_f32_e32 v25, 0xbf5db3d7, v17
	v_fmac_f32_e32 v13, 0xbf708fb2, v48
	v_fmac_f32_e32 v32, 0x3f5db3d7, v17
	v_fmac_f32_e32 v16, 0x3e31d0d4, v51
	v_fmac_f32_e32 v47, 0x3e31d0d4, v52
	v_add_f32_e32 v17, v51, v53
	v_add_f32_e32 v48, v52, v54
	v_fmac_f32_e32 v55, 0x3eaf1d44, v20
	v_fmac_f32_e32 v16, -0.5, v49
	v_fmac_f32_e32 v47, -0.5, v50
	v_add_f32_e32 v0, v49, v0
	v_add_f32_e32 v1, v50, v1
	;; [unrolled: 1-line block ×3, first 2 shown]
	v_fmac_f32_e32 v25, 0x3eaf1d44, v29
	v_fmac_f32_e32 v32, 0x3eaf1d44, v21
	;; [unrolled: 1-line block ×4, first 2 shown]
	v_sub_f32_e32 v21, v20, v29
	v_fmac_f32_e32 v0, -0.5, v17
	v_fmac_f32_e32 v1, -0.5, v48
	v_add_f32_e32 v12, v12, v25
	v_sub_f32_e32 v13, v13, v24
	v_add_f32_e32 v16, v32, v16
	v_sub_f32_e32 v17, v47, v55
	v_fmac_f32_e32 v0, 0x3f5db3d7, v21
	v_mul_f32_e32 v29, 0x3f5db3d7, v21
	v_fmac_f32_e32 v1, 0xbf5db3d7, v28
	v_mul_f32_e32 v33, 0x3f5db3d7, v28
	v_fma_f32 v20, -2.0, v25, v12
	v_fma_f32 v21, 2.0, v24, v13
	v_fma_f32 v24, -2.0, v32, v16
	v_fma_f32 v25, 2.0, v55, v17
	;; [unrolled: 2-line block ×3, first 2 shown]
	ds_write2_b64 v8, v[12:13], v[0:1] offset0:2 offset1:3
	ds_write2_b64 v8, v[16:17], v[24:25] offset0:4 offset1:5
	;; [unrolled: 1-line block ×3, first 2 shown]
	ds_write_b64 v8, v[4:5] offset:64
	v_cmpx_gt_u32_e32 35, v36
	s_cbranch_execz .LBB0_15
; %bb.14:
	v_sub_f32_e32 v12, v10, v6
	v_sub_f32_e32 v21, v30, v34
	;; [unrolled: 1-line block ×3, first 2 shown]
	v_add_f32_e32 v20, v31, v35
	v_add_f32_e32 v25, v19, v27
	v_mul_f32_e32 v0, 0x3f7c1c5c, v12
	v_sub_f32_e32 v31, v31, v35
	v_sub_f32_e32 v19, v19, v27
	v_add_f32_e32 v27, v30, v34
	v_add_f32_e32 v24, v11, v7
	v_fma_f32 v4, 0xbf248dbb, v21, -v0
	v_mul_f32_e32 v0, 0x3f7c1c5c, v28
	v_fmamk_f32 v1, v20, 0x3f441b7d, v3
	v_add_f32_e32 v29, v15, v23
	v_add_f32_e32 v30, v10, v6
	v_sub_f32_e32 v16, v14, v22
	v_fma_f32 v13, 0xbf248dbb, v31, -v0
	v_fmamk_f32 v0, v27, 0x3f441b7d, v2
	v_sub_f32_e32 v17, v18, v26
	v_fmac_f32_e32 v1, 0x3e31d0d4, v24
	v_add_f32_e32 v14, v14, v22
	v_add_f32_e32 v18, v18, v26
	v_fmac_f32_e32 v0, 0x3e31d0d4, v30
	v_add_f32_e32 v22, v20, v29
	v_fmac_f32_e32 v4, 0x3f5db3d7, v17
	v_fmac_f32_e32 v1, -0.5, v25
	v_sub_f32_e32 v15, v15, v23
	v_fmac_f32_e32 v13, 0x3f5db3d7, v19
	v_add_f32_e32 v23, v27, v14
	v_fmac_f32_e32 v0, -0.5, v18
	v_add_f32_e32 v26, v25, v22
	v_add_f32_e32 v33, v12, v16
	;; [unrolled: 1-line block ×4, first 2 shown]
	v_fmac_f32_e32 v4, 0x3eaf1d44, v16
	v_fmac_f32_e32 v1, 0xbf708fb2, v29
	;; [unrolled: 1-line block ×3, first 2 shown]
	v_add_f32_e32 v32, v18, v23
	v_fmac_f32_e32 v0, 0xbf708fb2, v14
	v_add_f32_e32 v11, v11, v26
	v_sub_f32_e32 v26, v33, v21
	v_fmac_f32_e32 v5, -0.5, v22
	v_sub_f32_e32 v1, v1, v4
	v_add_f32_e32 v10, v10, v32
	v_add_f32_e32 v0, v13, v0
	v_mul_f32_e32 v22, 0x3f5db3d7, v26
	v_fmac_f32_e32 v5, 0xbf5db3d7, v26
	v_add_f32_e32 v11, v7, v11
	v_add_f32_e32 v10, v6, v10
	v_fma_f32 v7, 2.0, v4, v1
	v_fma_f32 v6, -2.0, v13, v0
	v_fma_f32 v13, 2.0, v22, v5
	v_add_f32_e32 v22, v28, v15
	v_add_f32_e32 v4, v18, v2
	;; [unrolled: 1-line block ×3, first 2 shown]
	v_fmamk_f32 v32, v24, 0x3f441b7d, v3
	v_mul_f32_e32 v26, 0xbf248dbb, v12
	v_sub_f32_e32 v22, v22, v31
	v_mul_f32_e32 v33, 0xbf248dbb, v28
	v_fmac_f32_e32 v4, -0.5, v23
	v_add_f32_e32 v11, v11, v3
	v_add_f32_e32 v10, v10, v2
	v_mul_f32_e32 v23, 0x3f5db3d7, v22
	v_fmac_f32_e32 v32, 0x3e31d0d4, v29
	v_fmac_f32_e32 v4, 0x3f5db3d7, v22
	v_fmamk_f32 v22, v30, 0x3f441b7d, v2
	v_mul_f32_e32 v34, 0x3f248dbb, v16
	v_fmamk_f32 v3, v29, 0x3f441b7d, v3
	v_mul_f32_e32 v29, 0x3f248dbb, v15
	v_fmac_f32_e32 v2, 0x3f441b7d, v14
	v_fmac_f32_e32 v26, 0x3f7c1c5c, v16
	v_fmac_f32_e32 v33, 0x3f7c1c5c, v15
	v_fmac_f32_e32 v22, 0x3e31d0d4, v14
	v_fmac_f32_e32 v34, 0x3f7c1c5c, v21
	v_fmac_f32_e32 v3, 0x3e31d0d4, v20
	v_fmac_f32_e32 v29, 0x3f7c1c5c, v31
	v_fmac_f32_e32 v2, 0x3e31d0d4, v27
	v_fmac_f32_e32 v26, 0xbf5db3d7, v17
	v_fmac_f32_e32 v32, -0.5, v25
	v_fmac_f32_e32 v33, 0xbf5db3d7, v19
	v_fmac_f32_e32 v22, -0.5, v18
	v_fmac_f32_e32 v34, 0x3f5db3d7, v17
	;; [unrolled: 2-line block ×4, first 2 shown]
	v_fmac_f32_e32 v32, 0xbf708fb2, v20
	v_fmac_f32_e32 v33, 0x3eaf1d44, v31
	;; [unrolled: 1-line block ×7, first 2 shown]
	v_sub_f32_e32 v15, v32, v26
	v_add_f32_e32 v14, v22, v33
	v_sub_f32_e32 v3, v3, v34
	v_mad_i32_i24 v20, 0x48, v40, 0
	v_add_f32_e32 v2, v29, v2
	v_fma_f32 v12, -2.0, v23, v4
	v_fma_f32 v17, 2.0, v26, v15
	v_fma_f32 v16, -2.0, v33, v14
	v_fma_f32 v19, 2.0, v34, v3
	v_fma_f32 v18, -2.0, v29, v2
	ds_write2_b64 v20, v[10:11], v[2:3] offset1:1
	ds_write2_b64 v20, v[14:15], v[4:5] offset0:2 offset1:3
	ds_write2_b64 v20, v[0:1], v[6:7] offset0:4 offset1:5
	;; [unrolled: 1-line block ×3, first 2 shown]
	ds_write_b64 v20, v[18:19] offset:64
.LBB0_15:
	s_or_b32 exec_lo, exec_lo, s1
	v_and_b32_e32 v0, 0xff, v36
	v_mov_b32_e32 v4, 6
	s_waitcnt lgkmcnt(0)
	s_barrier
	buffer_gl0_inv
	v_mul_lo_u16 v0, v0, 57
	v_and_b32_e32 v6, 0xff, v40
	v_lshl_add_u32 v10, v40, 3, 0
	s_add_u32 s1, s8, 0x1b48
	s_addc_u32 s4, s9, 0
	v_lshrrev_b16 v35, 9, v0
	v_mul_lo_u16 v6, v6, 57
	s_mov_b32 s5, exec_lo
	v_mul_lo_u16 v0, v35, 9
	v_lshrrev_b16 v41, 9, v6
	v_sub_nc_u16 v37, v36, v0
	v_mul_lo_u16 v6, v41, 9
	v_mul_u32_u24_sdwa v0, v37, v4 dst_sel:DWORD dst_unused:UNUSED_PAD src0_sel:BYTE_0 src1_sel:DWORD
	v_sub_nc_u16 v55, v40, v6
	v_lshlrev_b32_e32 v5, 3, v0
	v_mul_u32_u24_sdwa v4, v55, v4 dst_sel:DWORD dst_unused:UNUSED_PAD src0_sel:BYTE_0 src1_sel:DWORD
	s_clause 0x2
	global_load_dwordx4 v[0:3], v5, s[8:9]
	global_load_dwordx4 v[11:14], v5, s[8:9] offset:16
	global_load_dwordx4 v[15:18], v5, s[8:9] offset:32
	v_lshlrev_b32_e32 v4, 3, v4
	s_clause 0x2
	global_load_dwordx4 v[19:22], v4, s[8:9] offset:16
	global_load_dwordx4 v[23:26], v4, s[8:9]
	global_load_dwordx4 v[27:30], v4, s[8:9] offset:32
	v_sub_nc_u32_e32 v4, v8, v9
	ds_read2_b64 v[31:34], v4 offset0:126 offset1:252
	ds_read_b64 v[6:7], v4 offset:3024
	ds_read2_b64 v[47:50], v44 offset0:120 offset1:183
	ds_read2_b64 v[51:54], v45 offset0:118 offset1:181
	v_add_nc_u32_e32 v5, 0x1400, v42
	s_waitcnt vmcnt(5) lgkmcnt(3)
	v_mul_f32_e32 v56, v1, v32
	v_mul_f32_e32 v57, v1, v31
	;; [unrolled: 1-line block ×4, first 2 shown]
	s_waitcnt vmcnt(4) lgkmcnt(2)
	v_mul_f32_e32 v59, v12, v6
	v_fma_f32 v56, v0, v31, -v56
	v_fmac_f32_e32 v57, v0, v32
	v_fma_f32 v33, v2, v33, -v1
	v_fmac_f32_e32 v58, v2, v34
	ds_read2_b64 v[0:3], v5 offset0:116 offset1:179
	ds_read_b64 v[31:32], v10
	v_mul_f32_e32 v34, v12, v7
	v_fmac_f32_e32 v59, v11, v7
	s_waitcnt lgkmcnt(3)
	v_mul_f32_e32 v7, v14, v48
	v_fma_f32 v6, v11, v6, -v34
	v_mul_f32_e32 v34, v14, v47
	s_waitcnt vmcnt(3) lgkmcnt(2)
	v_mul_f32_e32 v11, v52, v16
	v_fma_f32 v7, v13, v47, -v7
	v_mul_f32_e32 v16, v51, v16
	v_fmac_f32_e32 v34, v13, v48
	v_fma_f32 v47, v51, v15, -v11
	v_fmac_f32_e32 v16, v52, v15
	s_waitcnt vmcnt(2)
	v_mul_f32_e32 v15, v49, v22
	s_waitcnt lgkmcnt(1)
	v_mul_f32_e32 v12, v1, v18
	v_mul_f32_e32 v18, v0, v18
	v_fmac_f32_e32 v15, v50, v21
	v_fma_f32 v0, v0, v17, -v12
	ds_read2_b64 v[11:14], v43 offset0:59 offset1:185
	v_fmac_f32_e32 v18, v1, v17
	v_mul_f32_e32 v1, v50, v22
	v_mov_b32_e32 v22, 0x1f8
	v_fma_f32 v1, v49, v21, -v1
	s_waitcnt lgkmcnt(0)
	v_mul_f32_e32 v17, v14, v20
	v_mul_f32_e32 v20, v13, v20
	v_fma_f32 v17, v13, v19, -v17
	v_fmac_f32_e32 v20, v14, v19
	s_waitcnt vmcnt(1)
	v_mul_f32_e32 v13, v12, v26
	v_mul_f32_e32 v19, v11, v26
	v_mul_u32_u24_sdwa v26, v35, v22 dst_sel:DWORD dst_unused:UNUSED_PAD src0_sel:WORD_0 src1_sel:DWORD
	v_mul_u32_u24_sdwa v22, v41, v22 dst_sel:DWORD dst_unused:UNUSED_PAD src0_sel:WORD_0 src1_sel:DWORD
	v_mul_u32_u24_e32 v35, 6, v36
	v_fma_f32 v21, v11, v25, -v13
	v_fmac_f32_e32 v19, v12, v25
	ds_read2_b64 v[11:14], v42 offset1:189
	v_mov_b32_e32 v25, 3
	v_lshlrev_b32_e32 v35, 3, v35
	s_waitcnt vmcnt(0) lgkmcnt(0)
	s_barrier
	buffer_gl0_inv
	v_lshlrev_b32_sdwa v37, v25, v37 dst_sel:DWORD dst_unused:UNUSED_PAD src0_sel:DWORD src1_sel:BYTE_0
	v_lshlrev_b32_sdwa v25, v25, v55 dst_sel:DWORD dst_unused:UNUSED_PAD src0_sel:DWORD src1_sel:BYTE_0
	v_add3_u32 v37, 0, v26, v37
	v_add3_u32 v41, 0, v22, v25
	v_mul_f32_e32 v25, v54, v28
	v_sub_f32_e32 v26, v56, v0
	v_fma_f32 v25, v53, v27, -v25
	v_mul_f32_e32 v22, v14, v24
	v_mul_f32_e32 v24, v13, v24
	v_fma_f32 v13, v13, v23, -v22
	v_fmac_f32_e32 v24, v14, v23
	v_mul_f32_e32 v14, v53, v28
	v_mul_f32_e32 v22, v3, v30
	;; [unrolled: 1-line block ×3, first 2 shown]
	v_sub_f32_e32 v28, v33, v47
	v_add_f32_e32 v30, v59, v34
	v_fmac_f32_e32 v14, v54, v27
	v_fma_f32 v2, v2, v29, -v22
	v_fmac_f32_e32 v23, v3, v29
	v_add_f32_e32 v3, v56, v0
	v_add_f32_e32 v22, v57, v18
	;; [unrolled: 1-line block ×5, first 2 shown]
	v_sub_f32_e32 v6, v7, v6
	v_sub_f32_e32 v7, v34, v59
	v_add_f32_e32 v33, v13, v2
	v_add_f32_e32 v34, v24, v23
	v_sub_f32_e32 v2, v13, v2
	v_sub_f32_e32 v13, v24, v23
	v_add_f32_e32 v23, v21, v25
	v_add_f32_e32 v24, v19, v14
	;; [unrolled: 4-line block ×4, first 2 shown]
	v_sub_f32_e32 v18, v57, v18
	v_sub_f32_e32 v16, v58, v16
	;; [unrolled: 1-line block ×5, first 2 shown]
	v_add_f32_e32 v29, v29, v1
	v_add_f32_e32 v20, v30, v20
	;; [unrolled: 1-line block ×5, first 2 shown]
	v_sub_f32_e32 v48, v27, v22
	v_sub_f32_e32 v22, v22, v30
	;; [unrolled: 1-line block ×3, first 2 shown]
	v_add_f32_e32 v51, v7, v16
	v_sub_f32_e32 v52, v6, v28
	v_sub_f32_e32 v53, v7, v16
	v_sub_f32_e32 v28, v28, v26
	v_sub_f32_e32 v16, v16, v18
	v_sub_f32_e32 v56, v23, v33
	v_sub_f32_e32 v57, v24, v34
	v_sub_f32_e32 v33, v33, v19
	v_sub_f32_e32 v34, v34, v25
	v_sub_f32_e32 v23, v19, v23
	v_sub_f32_e32 v24, v25, v24
	v_add_f32_e32 v0, v29, v11
	v_add_f32_e32 v1, v20, v12
	;; [unrolled: 1-line block ×3, first 2 shown]
	v_sub_f32_e32 v12, v17, v21
	v_sub_f32_e32 v58, v15, v14
	;; [unrolled: 1-line block ×3, first 2 shown]
	v_add_f32_e32 v30, v17, v21
	v_sub_f32_e32 v21, v21, v2
	v_sub_f32_e32 v14, v14, v13
	v_add_f32_e32 v26, v50, v26
	v_mul_f32_e32 v3, 0x3f4a47b2, v3
	v_mul_f32_e32 v50, 0x3d64c772, v49
	v_add_f32_e32 v19, v19, v54
	v_add_f32_e32 v25, v25, v55
	v_sub_f32_e32 v7, v18, v7
	v_sub_f32_e32 v17, v2, v17
	;; [unrolled: 1-line block ×3, first 2 shown]
	v_add_f32_e32 v18, v51, v18
	v_mul_f32_e32 v22, 0x3f4a47b2, v22
	v_mul_f32_e32 v51, 0x3d64c772, v27
	;; [unrolled: 1-line block ×6, first 2 shown]
	v_add_f32_e32 v11, v11, v13
	v_mul_f32_e32 v13, 0x3f4a47b2, v33
	v_mul_f32_e32 v33, 0x3f4a47b2, v34
	;; [unrolled: 1-line block ×6, first 2 shown]
	v_add_f32_e32 v30, v30, v2
	v_mul_f32_e32 v60, 0x3f5ff5aa, v21
	v_fmamk_f32 v49, v49, 0x3d64c772, v3
	v_fma_f32 v50, 0x3f3bfb3b, v47, -v50
	v_fma_f32 v47, 0xbf3bfb3b, v47, -v3
	v_mul_f32_e32 v61, 0x3f5ff5aa, v14
	v_add_f32_e32 v2, v19, v31
	v_add_f32_e32 v3, v25, v32
	v_fmamk_f32 v27, v27, 0x3d64c772, v22
	v_fma_f32 v51, 0x3f3bfb3b, v48, -v51
	v_fma_f32 v22, 0xbf3bfb3b, v48, -v22
	v_fmamk_f32 v48, v6, 0x3eae86e6, v52
	v_fma_f32 v28, 0x3f5ff5aa, v28, -v52
	v_fmamk_f32 v52, v7, 0x3eae86e6, v53
	v_fma_f32 v16, 0x3f5ff5aa, v16, -v53
	v_fma_f32 v53, 0xbeae86e6, v6, -v59
	;; [unrolled: 1-line block ×3, first 2 shown]
	v_fmamk_f32 v6, v23, 0x3d64c772, v13
	v_fmamk_f32 v7, v24, 0x3d64c772, v33
	v_fma_f32 v23, 0x3f3bfb3b, v56, -v34
	v_fma_f32 v24, 0x3f3bfb3b, v57, -v55
	v_fmamk_f32 v32, v17, 0x3eae86e6, v12
	v_fma_f32 v34, 0x3f5ff5aa, v21, -v12
	v_fma_f32 v55, 0x3f5ff5aa, v14, -v58
	v_fmamk_f32 v12, v29, 0xbf955555, v0
	v_fmamk_f32 v14, v20, 0xbf955555, v1
	v_fma_f32 v13, 0xbf3bfb3b, v56, -v13
	v_fma_f32 v31, 0xbf3bfb3b, v57, -v33
	v_fmamk_f32 v33, v15, 0x3eae86e6, v58
	v_fma_f32 v56, 0xbeae86e6, v17, -v60
	v_fma_f32 v57, 0xbeae86e6, v15, -v61
	v_fmamk_f32 v15, v19, 0xbf955555, v2
	v_fmamk_f32 v17, v25, 0xbf955555, v3
	v_fmac_f32_e32 v48, 0x3ee1c552, v26
	v_fmac_f32_e32 v52, 0x3ee1c552, v18
	v_add_f32_e32 v19, v49, v12
	v_add_f32_e32 v20, v27, v14
	v_fmac_f32_e32 v28, 0x3ee1c552, v26
	v_fmac_f32_e32 v16, 0x3ee1c552, v18
	;; [unrolled: 1-line block ×4, first 2 shown]
	v_add_f32_e32 v18, v50, v12
	v_add_f32_e32 v21, v51, v14
	;; [unrolled: 1-line block ×4, first 2 shown]
	v_fmac_f32_e32 v32, 0x3ee1c552, v30
	v_fmac_f32_e32 v33, 0x3ee1c552, v11
	v_add_f32_e32 v47, v6, v15
	v_add_f32_e32 v49, v7, v17
	v_fmac_f32_e32 v34, 0x3ee1c552, v30
	v_fmac_f32_e32 v55, 0x3ee1c552, v11
	;; [unrolled: 1-line block ×4, first 2 shown]
	v_add_f32_e32 v27, v23, v15
	v_add_f32_e32 v29, v24, v17
	;; [unrolled: 1-line block ×5, first 2 shown]
	v_sub_f32_e32 v7, v20, v48
	v_add_f32_e32 v11, v54, v25
	v_sub_f32_e32 v12, v22, v53
	v_sub_f32_e32 v13, v18, v16
	v_add_f32_e32 v14, v28, v21
	v_add_f32_e32 v15, v16, v18
	v_sub_f32_e32 v16, v21, v28
	v_sub_f32_e32 v17, v25, v54
	v_add_f32_e32 v18, v53, v22
	v_sub_f32_e32 v19, v19, v52
	v_add_f32_e32 v20, v48, v20
	v_add_f32_e32 v21, v33, v47
	v_sub_f32_e32 v22, v49, v32
	v_add_f32_e32 v23, v57, v30
	v_sub_f32_e32 v24, v31, v56
	v_sub_f32_e32 v25, v27, v55
	v_add_f32_e32 v26, v34, v29
	v_add_f32_e32 v27, v55, v27
	v_sub_f32_e32 v28, v29, v34
	v_sub_f32_e32 v29, v30, v57
	v_add_f32_e32 v30, v56, v31
	v_sub_f32_e32 v31, v47, v33
	v_add_f32_e32 v32, v32, v49
	ds_write2_b64 v37, v[0:1], v[6:7] offset1:9
	ds_write2_b64 v37, v[11:12], v[13:14] offset0:18 offset1:27
	ds_write2_b64 v37, v[15:16], v[17:18] offset0:36 offset1:45
	ds_write_b64 v37, v[19:20] offset:432
	ds_write2_b64 v41, v[2:3], v[21:22] offset1:9
	ds_write2_b64 v41, v[23:24], v[25:26] offset0:18 offset1:27
	ds_write2_b64 v41, v[27:28], v[29:30] offset0:36 offset1:45
	ds_write_b64 v41, v[31:32] offset:432
	s_waitcnt lgkmcnt(0)
	s_barrier
	buffer_gl0_inv
	s_clause 0x2
	global_load_dwordx4 v[11:14], v35, s[8:9] offset:432
	global_load_dwordx4 v[15:18], v35, s[8:9] offset:448
	;; [unrolled: 1-line block ×3, first 2 shown]
	ds_read2_b64 v[23:26], v4 offset0:126 offset1:252
	ds_read2_b64 v[27:30], v44 offset0:120 offset1:183
	ds_read_b64 v[6:7], v4 offset:3024
	ds_read2_b64 v[31:34], v43 offset0:59 offset1:185
	v_mov_b32_e32 v37, 0
	v_mov_b32_e32 v41, v37
	v_lshlrev_b64 v[0:1], 3, v[36:37]
	v_lshlrev_b64 v[2:3], 3, v[40:41]
	ds_read2_b64 v[47:50], v42 offset1:189
	ds_read2_b64 v[51:54], v45 offset0:118 offset1:181
	ds_read_b64 v[40:41], v10
	v_add_co_u32 v35, s0, s8, v0
	v_add_co_ci_u32_e64 v37, s0, s9, v1, s0
	s_waitcnt vmcnt(2) lgkmcnt(6)
	v_mul_f32_e32 v55, v12, v24
	v_mul_f32_e32 v56, v12, v23
	v_mul_f32_e32 v57, v14, v26
	v_mul_f32_e32 v58, v14, v25
	s_waitcnt vmcnt(1) lgkmcnt(5)
	v_mul_f32_e32 v61, v18, v27
	v_fma_f32 v55, v11, v23, -v55
	v_fmac_f32_e32 v56, v11, v24
	v_mul_f32_e32 v23, v18, v28
	v_mul_f32_e32 v24, v30, v18
	v_fma_f32 v57, v13, v25, -v57
	v_fmac_f32_e32 v58, v13, v26
	v_fmac_f32_e32 v61, v17, v28
	v_fma_f32 v27, v17, v27, -v23
	v_fma_f32 v28, v29, v17, -v24
	ds_read2_b64 v[23:26], v5 offset0:116 offset1:179
	s_waitcnt lgkmcnt(5)
	v_mul_f32_e32 v59, v16, v7
	v_mul_f32_e32 v60, v16, v6
	s_waitcnt lgkmcnt(4)
	v_mul_f32_e32 v62, v34, v16
	v_mul_f32_e32 v18, v29, v18
	;; [unrolled: 1-line block ×3, first 2 shown]
	v_fma_f32 v59, v15, v6, -v59
	v_fmac_f32_e32 v60, v15, v7
	v_mul_f32_e32 v6, v32, v14
	v_add_co_u32 v7, s0, s8, v2
	v_fmac_f32_e32 v18, v30, v17
	v_fma_f32 v17, v33, v15, -v62
	v_fmac_f32_e32 v16, v34, v15
	v_mul_f32_e32 v14, v31, v14
	v_add_co_ci_u32_e64 v15, s0, s9, v3, s0
	v_fma_f32 v29, v31, v13, -v6
	v_add_co_u32 v6, s0, 0x800, v7
	v_fmac_f32_e32 v14, v32, v13
	s_waitcnt lgkmcnt(3)
	v_mul_f32_e32 v13, v50, v12
	v_mul_f32_e32 v30, v49, v12
	v_add_co_ci_u32_e64 v7, s0, 0, v15, s0
	s_waitcnt vmcnt(0) lgkmcnt(2)
	v_mul_f32_e32 v12, v20, v52
	v_mul_f32_e32 v15, v20, v51
	;; [unrolled: 1-line block ×4, first 2 shown]
	v_fma_f32 v13, v49, v11, -v13
	v_fmac_f32_e32 v30, v50, v11
	s_waitcnt lgkmcnt(0)
	v_mul_f32_e32 v11, v24, v22
	v_mul_f32_e32 v32, v23, v22
	v_fma_f32 v33, v19, v51, -v12
	v_fmac_f32_e32 v15, v19, v52
	v_fma_f32 v31, v53, v19, -v31
	v_fmac_f32_e32 v20, v54, v19
	v_mul_f32_e32 v19, v26, v22
	v_mul_f32_e32 v22, v25, v22
	v_fmac_f32_e32 v32, v24, v21
	v_fma_f32 v23, v23, v21, -v11
	v_sub_f32_e32 v50, v61, v60
	v_fma_f32 v19, v25, v21, -v19
	v_fmac_f32_e32 v22, v26, v21
	v_add_f32_e32 v24, v56, v32
	v_sub_f32_e32 v25, v56, v32
	v_add_f32_e32 v32, v58, v15
	v_sub_f32_e32 v15, v58, v15
	v_add_f32_e32 v51, v13, v19
	v_add_f32_e32 v52, v30, v22
	v_sub_f32_e32 v22, v30, v22
	v_add_f32_e32 v30, v29, v31
	v_add_f32_e32 v53, v14, v20
	v_add_f32_e32 v21, v55, v23
	v_add_f32_e32 v26, v57, v33
	v_sub_f32_e32 v33, v57, v33
	v_add_f32_e32 v34, v59, v27
	v_add_f32_e32 v49, v60, v61
	v_sub_f32_e32 v27, v27, v59
	v_sub_f32_e32 v29, v29, v31
	v_add_f32_e32 v31, v17, v28
	v_add_f32_e32 v54, v16, v18
	v_sub_f32_e32 v18, v18, v16
	v_add_f32_e32 v57, v50, v15
	v_sub_f32_e32 v59, v50, v15
	v_sub_f32_e32 v60, v15, v25
	v_add_f32_e32 v15, v30, v51
	v_add_f32_e32 v16, v53, v52
	v_sub_f32_e32 v19, v13, v19
	v_sub_f32_e32 v20, v14, v20
	;; [unrolled: 1-line block ×3, first 2 shown]
	v_add_f32_e32 v13, v26, v21
	v_add_f32_e32 v14, v32, v24
	;; [unrolled: 1-line block ×4, first 2 shown]
	v_sub_f32_e32 v23, v55, v23
	v_sub_f32_e32 v28, v26, v21
	;; [unrolled: 1-line block ×7, first 2 shown]
	v_add_f32_e32 v34, v34, v13
	v_add_f32_e32 v49, v49, v14
	;; [unrolled: 1-line block ×7, first 2 shown]
	v_sub_f32_e32 v58, v27, v33
	v_sub_f32_e32 v33, v33, v23
	v_add_f32_e32 v13, v34, v47
	v_add_f32_e32 v14, v49, v48
	v_sub_f32_e32 v47, v30, v51
	v_sub_f32_e32 v48, v53, v52
	;; [unrolled: 1-line block ×12, first 2 shown]
	v_mul_f32_e32 v21, 0x3f4a47b2, v21
	v_mul_f32_e32 v24, 0x3f4a47b2, v24
	v_add_f32_e32 v19, v40, v19
	v_mul_f32_e32 v40, 0x3d64c772, v26
	v_add_f32_e32 v22, v41, v22
	v_mul_f32_e32 v41, 0x3d64c772, v32
	v_sub_f32_e32 v27, v23, v27
	v_sub_f32_e32 v50, v25, v50
	v_add_f32_e32 v23, v56, v23
	v_add_f32_e32 v25, v57, v25
	v_mul_f32_e32 v56, 0xbf08b237, v58
	v_mul_f32_e32 v57, 0xbf08b237, v59
	v_fmamk_f32 v26, v26, 0x3d64c772, v21
	v_fma_f32 v40, 0x3f3bfb3b, v28, -v40
	v_fma_f32 v21, 0xbf3bfb3b, v28, -v21
	v_mul_f32_e32 v28, 0x3f5ff5aa, v33
	v_fmamk_f32 v32, v32, 0x3d64c772, v24
	v_fma_f32 v41, 0x3f3bfb3b, v55, -v41
	v_fma_f32 v24, 0xbf3bfb3b, v55, -v24
	v_mul_f32_e32 v55, 0x3f5ff5aa, v60
	v_mul_f32_e32 v51, 0x3f4a47b2, v51
	;; [unrolled: 1-line block ×3, first 2 shown]
	v_fma_f32 v33, 0x3f5ff5aa, v33, -v56
	v_fmamk_f32 v56, v27, 0x3eae86e6, v56
	v_fma_f32 v28, 0xbeae86e6, v27, -v28
	v_mul_f32_e32 v27, 0x3d64c772, v30
	v_fma_f32 v58, 0x3f5ff5aa, v60, -v57
	v_fmamk_f32 v57, v50, 0x3eae86e6, v57
	v_fma_f32 v50, 0xbeae86e6, v50, -v55
	v_mul_f32_e32 v55, 0x3d64c772, v31
	v_mul_f32_e32 v53, 0xbf08b237, v53
	;; [unrolled: 1-line block ×3, first 2 shown]
	v_fmamk_f32 v30, v30, 0x3d64c772, v51
	v_fma_f32 v27, 0x3f3bfb3b, v47, -v27
	v_fma_f32 v47, 0xbf3bfb3b, v47, -v51
	v_mul_f32_e32 v51, 0x3f5ff5aa, v29
	v_fmamk_f32 v31, v31, 0x3d64c772, v52
	v_fma_f32 v55, 0x3f3bfb3b, v48, -v55
	v_fma_f32 v48, 0xbf3bfb3b, v48, -v52
	v_mul_f32_e32 v52, 0x3f5ff5aa, v20
	v_fma_f32 v59, 0x3f5ff5aa, v29, -v53
	v_fma_f32 v60, 0x3f5ff5aa, v20, -v54
	v_fmamk_f32 v20, v34, 0xbf955555, v13
	v_fmamk_f32 v29, v49, 0xbf955555, v14
	v_fmamk_f32 v53, v17, 0x3eae86e6, v53
	v_fmamk_f32 v54, v18, 0x3eae86e6, v54
	v_fma_f32 v51, 0xbeae86e6, v17, -v51
	v_fma_f32 v52, 0xbeae86e6, v18, -v52
	v_fmac_f32_e32 v56, 0x3ee1c552, v23
	v_fmac_f32_e32 v57, 0x3ee1c552, v25
	;; [unrolled: 1-line block ×6, first 2 shown]
	v_fmamk_f32 v23, v61, 0xbf955555, v15
	v_fmamk_f32 v25, v62, 0xbf955555, v16
	v_add_f32_e32 v34, v26, v20
	v_add_f32_e32 v32, v32, v29
	;; [unrolled: 1-line block ×6, first 2 shown]
	v_add_co_u32 v11, s0, 0x800, v35
	v_add_co_ci_u32_e64 v12, s0, 0, v37, s0
	v_fmac_f32_e32 v53, 0x3ee1c552, v19
	v_fmac_f32_e32 v54, 0x3ee1c552, v22
	v_fmac_f32_e32 v59, 0x3ee1c552, v19
	v_fmac_f32_e32 v60, 0x3ee1c552, v22
	v_fmac_f32_e32 v51, 0x3ee1c552, v19
	v_fmac_f32_e32 v52, 0x3ee1c552, v22
	v_add_f32_e32 v61, v30, v23
	v_add_f32_e32 v62, v31, v25
	;; [unrolled: 1-line block ×6, first 2 shown]
	v_add_co_u32 v17, s0, 0x1000, v35
	v_add_f32_e32 v19, v57, v34
	v_sub_f32_e32 v20, v32, v56
	v_add_f32_e32 v21, v50, v41
	v_sub_f32_e32 v22, v29, v28
	v_sub_f32_e32 v23, v26, v58
	v_add_f32_e32 v24, v33, v40
	v_add_co_ci_u32_e64 v18, s0, 0, v37, s0
	v_add_f32_e32 v25, v58, v26
	v_sub_f32_e32 v26, v40, v33
	v_sub_f32_e32 v27, v41, v50
	v_add_f32_e32 v28, v28, v29
	v_sub_f32_e32 v29, v34, v57
	v_add_f32_e32 v30, v56, v32
	v_add_f32_e32 v31, v54, v61
	v_sub_f32_e32 v32, v62, v53
	v_add_f32_e32 v33, v52, v63
	v_sub_f32_e32 v34, v64, v51
	v_sub_f32_e32 v40, v49, v60
	v_add_f32_e32 v41, v59, v55
	s_barrier
	buffer_gl0_inv
	v_add_f32_e32 v47, v60, v49
	v_sub_f32_e32 v48, v55, v59
	v_sub_f32_e32 v49, v63, v52
	v_add_f32_e32 v50, v51, v64
	v_sub_f32_e32 v51, v61, v54
	v_add_f32_e32 v52, v53, v62
	ds_write2_b64 v42, v[13:14], v[19:20] offset1:63
	ds_write2_b64 v42, v[21:22], v[23:24] offset0:126 offset1:189
	ds_write2_b64 v46, v[25:26], v[27:28] offset0:124 offset1:187
	;; [unrolled: 1-line block ×6, first 2 shown]
	s_waitcnt lgkmcnt(0)
	s_barrier
	buffer_gl0_inv
	s_clause 0x4
	global_load_dwordx2 v[31:32], v[11:12], off offset:1408
	global_load_dwordx2 v[6:7], v[6:7], off offset:1408
	;; [unrolled: 1-line block ×5, first 2 shown]
	v_add_co_u32 v11, s0, 0x1800, v35
	v_add_co_ci_u32_e64 v12, s0, 0, v37, s0
	s_clause 0x1
	global_load_dwordx2 v[47:48], v[17:18], off offset:1880
	global_load_dwordx2 v[49:50], v[11:12], off offset:336
	ds_read2_b64 v[11:14], v43 offset0:59 offset1:185
	ds_read2_b64 v[15:18], v44 offset0:120 offset1:183
	ds_read_b64 v[43:44], v42 offset:5040
	ds_read2_b32 v[51:52], v5 offset0:106 offset1:107
	ds_read2_b64 v[19:22], v42 offset1:189
	ds_read2_b64 v[23:26], v4 offset0:126 offset1:252
	ds_read2_b64 v[27:30], v5 offset0:116 offset1:179
	ds_read_b64 v[53:54], v10
	ds_read_b64 v[55:56], v4 offset:3024
	s_waitcnt vmcnt(0) lgkmcnt(0)
	s_barrier
	buffer_gl0_inv
	v_mul_f32_e32 v5, v32, v14
	v_mul_f32_e32 v35, v7, v16
	;; [unrolled: 1-line block ×7, first 2 shown]
	v_fma_f32 v15, v6, v15, -v35
	v_fmac_f32_e32 v7, v6, v16
	v_mul_f32_e32 v35, v41, v43
	v_mul_f32_e32 v6, v52, v46
	v_fma_f32 v16, v33, v17, -v37
	v_fmac_f32_e32 v34, v33, v18
	v_mul_f32_e32 v33, v46, v51
	v_mul_f32_e32 v17, v28, v48
	v_mul_f32_e32 v37, v27, v48
	v_mul_f32_e32 v18, v30, v50
	v_mul_f32_e32 v41, v29, v50
	v_fma_f32 v5, v31, v13, -v5
	v_fmac_f32_e32 v32, v31, v14
	v_fma_f32 v31, v40, v43, -v57
	v_fmac_f32_e32 v35, v40, v44
	;; [unrolled: 2-line block ×5, first 2 shown]
	v_sub_f32_e32 v5, v19, v5
	v_sub_f32_e32 v6, v20, v32
	;; [unrolled: 1-line block ×14, first 2 shown]
	v_fma_f32 v19, v19, 2.0, -v5
	v_fma_f32 v20, v20, 2.0, -v6
	;; [unrolled: 1-line block ×14, first 2 shown]
	ds_write_b64 v42, v[5:6] offset:3528
	ds_write_b64 v42, v[19:20]
	ds_write_b64 v10, v[33:34]
	ds_write_b64 v10, v[13:14] offset:3528
	ds_write_b64 v4, v[23:24] offset:1008
	ds_write_b64 v4, v[15:16] offset:4536
	ds_write_b64 v42, v[21:22] offset:1512
	ds_write_b64 v42, v[17:18] offset:5040
	ds_write_b64 v4, v[25:26] offset:2016
	ds_write_b64 v4, v[27:28] offset:5544
	ds_write_b64 v42, v[11:12] offset:2520
	ds_write_b64 v42, v[29:30] offset:6048
	ds_write_b64 v4, v[40:41] offset:3024
	ds_write_b64 v4, v[31:32] offset:6552
	s_waitcnt lgkmcnt(0)
	s_barrier
	buffer_gl0_inv
	ds_read_b64 v[6:7], v42
	v_lshlrev_b32_e32 v4, 3, v36
                                        ; implicit-def: $vgpr12
                                        ; implicit-def: $vgpr13
	v_sub_nc_u32_e32 v11, 0, v4
                                        ; implicit-def: $vgpr4
	v_cmpx_ne_u32_e32 0, v36
	s_xor_b32 s5, exec_lo, s5
	s_cbranch_execz .LBB0_17
; %bb.16:
	v_add_co_u32 v4, s0, s1, v0
	v_add_co_ci_u32_e64 v5, s0, s4, v1, s0
	global_load_dwordx2 v[14:15], v[4:5], off
	ds_read_b64 v[4:5], v11 offset:7056
	s_waitcnt lgkmcnt(0)
	v_sub_f32_e32 v12, v6, v4
	v_add_f32_e32 v13, v5, v7
	v_sub_f32_e32 v5, v7, v5
	v_add_f32_e32 v4, v4, v6
	v_mul_f32_e32 v7, 0.5, v12
	v_mul_f32_e32 v6, 0.5, v13
	;; [unrolled: 1-line block ×3, first 2 shown]
	s_waitcnt vmcnt(0)
	v_mul_f32_e32 v13, v15, v7
	v_fma_f32 v16, v6, v15, v5
	v_fma_f32 v5, v6, v15, -v5
	v_fma_f32 v12, 0.5, v4, v13
	v_fma_f32 v4, v4, 0.5, -v13
	v_fma_f32 v13, -v14, v7, v16
	v_fma_f32 v5, -v14, v7, v5
	v_fmac_f32_e32 v12, v14, v6
	v_fma_f32 v4, -v14, v6, v4
                                        ; implicit-def: $vgpr6_vgpr7
.LBB0_17:
	s_or_saveexec_b32 s0, s5
	v_sub_nc_u32_e32 v9, 0, v9
	s_xor_b32 exec_lo, exec_lo, s0
	s_cbranch_execz .LBB0_19
; %bb.18:
	v_mov_b32_e32 v13, 0
	s_waitcnt lgkmcnt(0)
	v_add_f32_e32 v12, v6, v7
	v_sub_f32_e32 v4, v6, v7
	ds_read_b32 v5, v13 offset:3532
	s_waitcnt lgkmcnt(0)
	v_xor_b32_e32 v6, 0x80000000, v5
	v_mov_b32_e32 v5, 0
	ds_write_b32 v13, v6 offset:3532
.LBB0_19:
	s_or_b32 exec_lo, exec_lo, s0
	v_add_co_u32 v2, s0, s1, v2
	v_add_co_ci_u32_e64 v3, s0, s4, v3, s0
	s_waitcnt lgkmcnt(0)
	v_add_co_u32 v6, s0, s1, v0
	v_add_co_ci_u32_e64 v7, s0, s4, v1, s0
	s_clause 0x3
	global_load_dwordx2 v[2:3], v[2:3], off
	global_load_dwordx2 v[14:15], v[6:7], off offset:1008
	global_load_dwordx2 v[16:17], v[6:7], off offset:1512
	;; [unrolled: 1-line block ×3, first 2 shown]
	v_add_co_u32 v6, s0, 0x800, v6
	v_add_co_ci_u32_e64 v7, s0, 0, v7, s0
	s_clause 0x1
	global_load_dwordx2 v[20:21], v[6:7], off offset:472
	global_load_dwordx2 v[6:7], v[6:7], off offset:976
	ds_write2_b32 v42, v12, v13 offset1:1
	ds_write_b64 v11, v[4:5] offset:7056
	ds_read_b64 v[4:5], v10
	ds_read_b64 v[12:13], v11 offset:6552
	s_waitcnt lgkmcnt(0)
	v_sub_f32_e32 v22, v4, v12
	v_add_f32_e32 v23, v5, v13
	v_sub_f32_e32 v5, v5, v13
	v_add_f32_e32 v4, v4, v12
	v_mul_f32_e32 v13, 0.5, v22
	v_mul_f32_e32 v22, 0.5, v23
	;; [unrolled: 1-line block ×3, first 2 shown]
	s_waitcnt vmcnt(5)
	v_mul_f32_e32 v12, v3, v13
	v_fma_f32 v23, v22, v3, v5
	v_fma_f32 v3, v22, v3, -v5
	v_fma_f32 v5, 0.5, v4, v12
	v_fma_f32 v4, v4, 0.5, -v12
	v_fma_f32 v12, -v2, v13, v23
	v_fma_f32 v3, -v2, v13, v3
	v_add_nc_u32_e32 v13, v8, v9
	v_fmac_f32_e32 v5, v2, v22
	v_fma_f32 v2, -v2, v22, v4
	ds_write2_b32 v10, v5, v12 offset1:1
	ds_write_b64 v11, v[2:3] offset:6552
	ds_read_b64 v[2:3], v13 offset:1008
	ds_read_b64 v[4:5], v11 offset:6048
	s_waitcnt lgkmcnt(0)
	v_sub_f32_e32 v8, v2, v4
	v_add_f32_e32 v9, v3, v5
	v_sub_f32_e32 v3, v3, v5
	v_add_f32_e32 v2, v2, v4
	v_mul_f32_e32 v5, 0.5, v8
	v_mul_f32_e32 v8, 0.5, v9
	;; [unrolled: 1-line block ×3, first 2 shown]
	s_waitcnt vmcnt(4)
	v_mul_f32_e32 v4, v15, v5
	v_fma_f32 v9, v8, v15, v3
	v_fma_f32 v3, v8, v15, -v3
	v_fma_f32 v10, 0.5, v2, v4
	v_fma_f32 v2, v2, 0.5, -v4
	v_fma_f32 v4, -v14, v5, v9
	v_fma_f32 v3, -v14, v5, v3
	v_fmac_f32_e32 v10, v14, v8
	v_fma_f32 v2, -v14, v8, v2
	ds_write_b32 v13, v4 offset:1012
	ds_write_b32 v11, v3 offset:6052
	;; [unrolled: 1-line block ×4, first 2 shown]
	ds_read_b64 v[2:3], v42 offset:1512
	ds_read_b64 v[4:5], v11 offset:5544
	s_waitcnt lgkmcnt(0)
	v_sub_f32_e32 v8, v2, v4
	v_add_f32_e32 v9, v3, v5
	v_sub_f32_e32 v3, v3, v5
	v_add_f32_e32 v2, v2, v4
	v_mul_f32_e32 v5, 0.5, v8
	v_mul_f32_e32 v8, 0.5, v9
	;; [unrolled: 1-line block ×3, first 2 shown]
	s_waitcnt vmcnt(3)
	v_mul_f32_e32 v4, v17, v5
	v_fma_f32 v9, v8, v17, v3
	v_fma_f32 v3, v8, v17, -v3
	v_fma_f32 v10, 0.5, v2, v4
	v_fma_f32 v12, v2, 0.5, -v4
	v_add_nc_u32_e32 v2, 0x400, v42
	v_fma_f32 v9, -v16, v5, v9
	v_fma_f32 v4, -v16, v5, v3
	v_fmac_f32_e32 v10, v16, v8
	v_fma_f32 v3, -v16, v8, v12
	ds_write2_b32 v2, v10, v9 offset0:122 offset1:123
	ds_write_b64 v11, v[3:4] offset:5544
	ds_read_b64 v[3:4], v13 offset:2016
	ds_read_b64 v[8:9], v11 offset:5040
	s_waitcnt lgkmcnt(0)
	v_sub_f32_e32 v5, v3, v8
	v_add_f32_e32 v10, v4, v9
	v_sub_f32_e32 v4, v4, v9
	v_add_f32_e32 v3, v3, v8
	v_mul_f32_e32 v5, 0.5, v5
	v_mul_f32_e32 v9, 0.5, v10
	;; [unrolled: 1-line block ×3, first 2 shown]
	s_waitcnt vmcnt(2)
	v_mul_f32_e32 v8, v19, v5
	v_fma_f32 v10, v9, v19, v4
	v_fma_f32 v4, v9, v19, -v4
	v_fma_f32 v12, 0.5, v3, v8
	v_fma_f32 v3, v3, 0.5, -v8
	v_fma_f32 v8, -v18, v5, v10
	v_fma_f32 v4, -v18, v5, v4
	v_fmac_f32_e32 v12, v18, v9
	v_fma_f32 v3, -v18, v9, v3
	ds_write_b32 v13, v8 offset:2020
	ds_write_b32 v11, v4 offset:5044
	;; [unrolled: 1-line block ×4, first 2 shown]
	ds_read_b64 v[3:4], v42 offset:2520
	ds_read_b64 v[8:9], v11 offset:4536
	s_waitcnt lgkmcnt(0)
	v_sub_f32_e32 v5, v3, v8
	v_add_f32_e32 v10, v4, v9
	v_sub_f32_e32 v4, v4, v9
	v_add_f32_e32 v3, v3, v8
	v_mul_f32_e32 v5, 0.5, v5
	v_mul_f32_e32 v9, 0.5, v10
	;; [unrolled: 1-line block ×3, first 2 shown]
	s_waitcnt vmcnt(1)
	v_mul_f32_e32 v8, v21, v5
	v_fma_f32 v10, v9, v21, v4
	v_fma_f32 v4, v9, v21, -v4
	v_fma_f32 v12, 0.5, v3, v8
	v_fma_f32 v8, v3, 0.5, -v8
	v_add_nc_u32_e32 v3, 0x800, v42
	v_fma_f32 v10, -v20, v5, v10
	v_fma_f32 v5, -v20, v5, v4
	v_fmac_f32_e32 v12, v20, v9
	v_fma_f32 v4, -v20, v9, v8
	ds_write2_b32 v3, v12, v10 offset0:118 offset1:119
	ds_write_b64 v11, v[4:5] offset:4536
	ds_read_b64 v[4:5], v13 offset:3024
	ds_read_b64 v[8:9], v11 offset:4032
	s_waitcnt lgkmcnt(0)
	v_sub_f32_e32 v10, v4, v8
	v_add_f32_e32 v12, v5, v9
	v_sub_f32_e32 v5, v5, v9
	v_add_f32_e32 v4, v4, v8
	v_mul_f32_e32 v9, 0.5, v10
	v_mul_f32_e32 v10, 0.5, v12
	;; [unrolled: 1-line block ×3, first 2 shown]
	s_waitcnt vmcnt(0)
	v_mul_f32_e32 v8, v7, v9
	v_fma_f32 v12, v10, v7, v5
	v_fma_f32 v5, v10, v7, -v5
	v_fma_f32 v7, 0.5, v4, v8
	v_fma_f32 v4, v4, 0.5, -v8
	v_fma_f32 v8, -v6, v9, v12
	v_fma_f32 v5, -v6, v9, v5
	v_fmac_f32_e32 v7, v6, v10
	v_fma_f32 v4, -v6, v10, v4
	ds_write_b32 v13, v8 offset:3028
	ds_write_b32 v11, v5 offset:4036
	;; [unrolled: 1-line block ×4, first 2 shown]
	s_waitcnt lgkmcnt(0)
	s_barrier
	buffer_gl0_inv
	s_and_saveexec_b32 s0, vcc_lo
	s_cbranch_execz .LBB0_22
; %bb.20:
	ds_read2_b64 v[5:8], v42 offset1:63
	ds_read2_b64 v[9:12], v42 offset0:126 offset1:189
	ds_read2_b64 v[13:16], v2 offset0:124 offset1:187
	v_add_co_u32 v2, vcc_lo, s2, v38
	v_add_co_ci_u32_e32 v4, vcc_lo, s3, v39, vcc_lo
	v_add_nc_u32_e32 v21, 0xc00, v42
	v_add_co_u32 v0, vcc_lo, v2, v0
	v_add_co_ci_u32_e32 v1, vcc_lo, v4, v1, vcc_lo
	ds_read2_b64 v[17:20], v3 offset0:122 offset1:185
	v_add_nc_u32_e32 v3, 0x1000, v42
	v_add_nc_u32_e32 v25, 0x1400, v42
	ds_read2_b64 v[21:24], v21 offset0:120 offset1:183
	s_waitcnt lgkmcnt(4)
	global_store_dwordx2 v[0:1], v[5:6], off
	global_store_dwordx2 v[0:1], v[7:8], off offset:504
	s_waitcnt lgkmcnt(3)
	global_store_dwordx2 v[0:1], v[9:10], off offset:1008
	global_store_dwordx2 v[0:1], v[11:12], off offset:1512
	s_waitcnt lgkmcnt(2)
	global_store_dwordx2 v[0:1], v[13:14], off offset:2016
	ds_read2_b64 v[5:8], v3 offset0:118 offset1:181
	ds_read2_b64 v[9:12], v25 offset0:116 offset1:179
	v_add_co_u32 v13, vcc_lo, 0x800, v0
	v_add_co_ci_u32_e32 v14, vcc_lo, 0, v1, vcc_lo
	v_add_co_u32 v25, vcc_lo, 0x1000, v0
	v_add_co_ci_u32_e32 v26, vcc_lo, 0, v1, vcc_lo
	;; [unrolled: 2-line block ×3, first 2 shown]
	v_cmp_eq_u32_e32 vcc_lo, 62, v36
	global_store_dwordx2 v[13:14], v[15:16], off offset:472
	s_waitcnt lgkmcnt(3)
	global_store_dwordx2 v[13:14], v[17:18], off offset:976
	global_store_dwordx2 v[13:14], v[19:20], off offset:1480
	s_waitcnt lgkmcnt(2)
	global_store_dwordx2 v[13:14], v[21:22], off offset:1984
	;; [unrolled: 3-line block ×4, first 2 shown]
	global_store_dwordx2 v[0:1], v[11:12], off offset:408
	s_and_b32 exec_lo, exec_lo, vcc_lo
	s_cbranch_execz .LBB0_22
; %bb.21:
	v_mov_b32_e32 v0, 0
	v_add_co_u32 v2, vcc_lo, 0x1800, v2
	v_add_co_ci_u32_e32 v3, vcc_lo, 0, v4, vcc_lo
	ds_read_b64 v[0:1], v0 offset:7056
	s_waitcnt lgkmcnt(0)
	global_store_dwordx2 v[2:3], v[0:1], off offset:912
.LBB0_22:
	s_endpgm
	.section	.rodata,"a",@progbits
	.p2align	6, 0x0
	.amdhsa_kernel fft_rtc_fwd_len882_factors_9_7_7_2_wgs_63_tpt_63_sp_ip_CI_unitstride_sbrr_R2C_dirReg
		.amdhsa_group_segment_fixed_size 0
		.amdhsa_private_segment_fixed_size 0
		.amdhsa_kernarg_size 88
		.amdhsa_user_sgpr_count 6
		.amdhsa_user_sgpr_private_segment_buffer 1
		.amdhsa_user_sgpr_dispatch_ptr 0
		.amdhsa_user_sgpr_queue_ptr 0
		.amdhsa_user_sgpr_kernarg_segment_ptr 1
		.amdhsa_user_sgpr_dispatch_id 0
		.amdhsa_user_sgpr_flat_scratch_init 0
		.amdhsa_user_sgpr_private_segment_size 0
		.amdhsa_wavefront_size32 1
		.amdhsa_uses_dynamic_stack 0
		.amdhsa_system_sgpr_private_segment_wavefront_offset 0
		.amdhsa_system_sgpr_workgroup_id_x 1
		.amdhsa_system_sgpr_workgroup_id_y 0
		.amdhsa_system_sgpr_workgroup_id_z 0
		.amdhsa_system_sgpr_workgroup_info 0
		.amdhsa_system_vgpr_workitem_id 0
		.amdhsa_next_free_vgpr 65
		.amdhsa_next_free_sgpr 21
		.amdhsa_reserve_vcc 1
		.amdhsa_reserve_flat_scratch 0
		.amdhsa_float_round_mode_32 0
		.amdhsa_float_round_mode_16_64 0
		.amdhsa_float_denorm_mode_32 3
		.amdhsa_float_denorm_mode_16_64 3
		.amdhsa_dx10_clamp 1
		.amdhsa_ieee_mode 1
		.amdhsa_fp16_overflow 0
		.amdhsa_workgroup_processor_mode 1
		.amdhsa_memory_ordered 1
		.amdhsa_forward_progress 0
		.amdhsa_shared_vgpr_count 0
		.amdhsa_exception_fp_ieee_invalid_op 0
		.amdhsa_exception_fp_denorm_src 0
		.amdhsa_exception_fp_ieee_div_zero 0
		.amdhsa_exception_fp_ieee_overflow 0
		.amdhsa_exception_fp_ieee_underflow 0
		.amdhsa_exception_fp_ieee_inexact 0
		.amdhsa_exception_int_div_zero 0
	.end_amdhsa_kernel
	.text
.Lfunc_end0:
	.size	fft_rtc_fwd_len882_factors_9_7_7_2_wgs_63_tpt_63_sp_ip_CI_unitstride_sbrr_R2C_dirReg, .Lfunc_end0-fft_rtc_fwd_len882_factors_9_7_7_2_wgs_63_tpt_63_sp_ip_CI_unitstride_sbrr_R2C_dirReg
                                        ; -- End function
	.section	.AMDGPU.csdata,"",@progbits
; Kernel info:
; codeLenInByte = 8384
; NumSgprs: 23
; NumVgprs: 65
; ScratchSize: 0
; MemoryBound: 0
; FloatMode: 240
; IeeeMode: 1
; LDSByteSize: 0 bytes/workgroup (compile time only)
; SGPRBlocks: 2
; VGPRBlocks: 8
; NumSGPRsForWavesPerEU: 23
; NumVGPRsForWavesPerEU: 65
; Occupancy: 12
; WaveLimiterHint : 1
; COMPUTE_PGM_RSRC2:SCRATCH_EN: 0
; COMPUTE_PGM_RSRC2:USER_SGPR: 6
; COMPUTE_PGM_RSRC2:TRAP_HANDLER: 0
; COMPUTE_PGM_RSRC2:TGID_X_EN: 1
; COMPUTE_PGM_RSRC2:TGID_Y_EN: 0
; COMPUTE_PGM_RSRC2:TGID_Z_EN: 0
; COMPUTE_PGM_RSRC2:TIDIG_COMP_CNT: 0
	.text
	.p2alignl 6, 3214868480
	.fill 48, 4, 3214868480
	.type	__hip_cuid_d1b6569e4a4d6ab8,@object ; @__hip_cuid_d1b6569e4a4d6ab8
	.section	.bss,"aw",@nobits
	.globl	__hip_cuid_d1b6569e4a4d6ab8
__hip_cuid_d1b6569e4a4d6ab8:
	.byte	0                               ; 0x0
	.size	__hip_cuid_d1b6569e4a4d6ab8, 1

	.ident	"AMD clang version 19.0.0git (https://github.com/RadeonOpenCompute/llvm-project roc-6.4.0 25133 c7fe45cf4b819c5991fe208aaa96edf142730f1d)"
	.section	".note.GNU-stack","",@progbits
	.addrsig
	.addrsig_sym __hip_cuid_d1b6569e4a4d6ab8
	.amdgpu_metadata
---
amdhsa.kernels:
  - .args:
      - .actual_access:  read_only
        .address_space:  global
        .offset:         0
        .size:           8
        .value_kind:     global_buffer
      - .offset:         8
        .size:           8
        .value_kind:     by_value
      - .actual_access:  read_only
        .address_space:  global
        .offset:         16
        .size:           8
        .value_kind:     global_buffer
      - .actual_access:  read_only
        .address_space:  global
        .offset:         24
        .size:           8
        .value_kind:     global_buffer
      - .offset:         32
        .size:           8
        .value_kind:     by_value
      - .actual_access:  read_only
        .address_space:  global
        .offset:         40
        .size:           8
        .value_kind:     global_buffer
      - .actual_access:  read_only
        .address_space:  global
        .offset:         48
        .size:           8
        .value_kind:     global_buffer
      - .offset:         56
        .size:           4
        .value_kind:     by_value
      - .actual_access:  read_only
        .address_space:  global
        .offset:         64
        .size:           8
        .value_kind:     global_buffer
      - .actual_access:  read_only
        .address_space:  global
        .offset:         72
        .size:           8
        .value_kind:     global_buffer
      - .address_space:  global
        .offset:         80
        .size:           8
        .value_kind:     global_buffer
    .group_segment_fixed_size: 0
    .kernarg_segment_align: 8
    .kernarg_segment_size: 88
    .language:       OpenCL C
    .language_version:
      - 2
      - 0
    .max_flat_workgroup_size: 63
    .name:           fft_rtc_fwd_len882_factors_9_7_7_2_wgs_63_tpt_63_sp_ip_CI_unitstride_sbrr_R2C_dirReg
    .private_segment_fixed_size: 0
    .sgpr_count:     23
    .sgpr_spill_count: 0
    .symbol:         fft_rtc_fwd_len882_factors_9_7_7_2_wgs_63_tpt_63_sp_ip_CI_unitstride_sbrr_R2C_dirReg.kd
    .uniform_work_group_size: 1
    .uses_dynamic_stack: false
    .vgpr_count:     65
    .vgpr_spill_count: 0
    .wavefront_size: 32
    .workgroup_processor_mode: 1
amdhsa.target:   amdgcn-amd-amdhsa--gfx1030
amdhsa.version:
  - 1
  - 2
...

	.end_amdgpu_metadata
